;; amdgpu-corpus repo=ROCm/rocFFT kind=compiled arch=gfx950 opt=O3
	.text
	.amdgcn_target "amdgcn-amd-amdhsa--gfx950"
	.amdhsa_code_object_version 6
	.protected	fft_rtc_back_len2500_factors_10_5_10_5_wgs_250_tpt_250_halfLds_dp_op_CI_CI_unitstride_sbrr_C2R_dirReg ; -- Begin function fft_rtc_back_len2500_factors_10_5_10_5_wgs_250_tpt_250_halfLds_dp_op_CI_CI_unitstride_sbrr_C2R_dirReg
	.globl	fft_rtc_back_len2500_factors_10_5_10_5_wgs_250_tpt_250_halfLds_dp_op_CI_CI_unitstride_sbrr_C2R_dirReg
	.p2align	8
	.type	fft_rtc_back_len2500_factors_10_5_10_5_wgs_250_tpt_250_halfLds_dp_op_CI_CI_unitstride_sbrr_C2R_dirReg,@function
fft_rtc_back_len2500_factors_10_5_10_5_wgs_250_tpt_250_halfLds_dp_op_CI_CI_unitstride_sbrr_C2R_dirReg: ; @fft_rtc_back_len2500_factors_10_5_10_5_wgs_250_tpt_250_halfLds_dp_op_CI_CI_unitstride_sbrr_C2R_dirReg
; %bb.0:
	s_load_dwordx4 s[4:7], s[0:1], 0x58
	s_load_dwordx4 s[8:11], s[0:1], 0x0
	;; [unrolled: 1-line block ×3, first 2 shown]
	v_mul_u32_u24_e32 v1, 0x107, v0
	v_add_u32_sdwa v6, s2, v1 dst_sel:DWORD dst_unused:UNUSED_PAD src0_sel:DWORD src1_sel:WORD_1
	v_mov_b32_e32 v4, 0
	s_waitcnt lgkmcnt(0)
	v_cmp_lt_u64_e64 s[2:3], s[10:11], 2
	v_mov_b32_e32 v7, v4
	s_and_b64 vcc, exec, s[2:3]
	v_mov_b64_e32 v[2:3], 0
	s_cbranch_vccnz .LBB0_8
; %bb.1:
	s_load_dwordx2 s[2:3], s[0:1], 0x10
	s_add_u32 s16, s14, 8
	s_addc_u32 s17, s15, 0
	s_add_u32 s18, s12, 8
	s_addc_u32 s19, s13, 0
	s_waitcnt lgkmcnt(0)
	s_add_u32 s20, s2, 8
	v_mov_b64_e32 v[2:3], 0
	s_addc_u32 s21, s3, 0
	s_mov_b64 s[22:23], 1
	v_mov_b64_e32 v[20:21], v[2:3]
.LBB0_2:                                ; =>This Inner Loop Header: Depth=1
	s_load_dwordx2 s[24:25], s[20:21], 0x0
                                        ; implicit-def: $vgpr22_vgpr23
	s_waitcnt lgkmcnt(0)
	v_or_b32_e32 v5, s25, v7
	v_cmp_ne_u64_e32 vcc, 0, v[4:5]
	s_and_saveexec_b64 s[2:3], vcc
	s_xor_b64 s[26:27], exec, s[2:3]
	s_cbranch_execz .LBB0_4
; %bb.3:                                ;   in Loop: Header=BB0_2 Depth=1
	v_cvt_f32_u32_e32 v1, s24
	v_cvt_f32_u32_e32 v5, s25
	s_sub_u32 s2, 0, s24
	s_subb_u32 s3, 0, s25
	v_fmac_f32_e32 v1, 0x4f800000, v5
	v_rcp_f32_e32 v1, v1
	s_nop 0
	v_mul_f32_e32 v1, 0x5f7ffffc, v1
	v_mul_f32_e32 v5, 0x2f800000, v1
	v_trunc_f32_e32 v5, v5
	v_fmac_f32_e32 v1, 0xcf800000, v5
	v_cvt_u32_f32_e32 v5, v5
	v_cvt_u32_f32_e32 v1, v1
	v_mul_lo_u32 v8, s2, v5
	v_mul_hi_u32 v10, s2, v1
	v_mul_lo_u32 v9, s3, v1
	v_add_u32_e32 v10, v10, v8
	v_mul_lo_u32 v12, s2, v1
	v_add_u32_e32 v13, v10, v9
	v_mul_hi_u32 v8, v1, v12
	v_mul_hi_u32 v11, v1, v13
	v_mul_lo_u32 v10, v1, v13
	v_mov_b32_e32 v9, v4
	v_lshl_add_u64 v[8:9], v[8:9], 0, v[10:11]
	v_mul_hi_u32 v11, v5, v12
	v_mul_lo_u32 v12, v5, v12
	v_add_co_u32_e32 v8, vcc, v8, v12
	v_mul_hi_u32 v10, v5, v13
	s_nop 0
	v_addc_co_u32_e32 v8, vcc, v9, v11, vcc
	v_mov_b32_e32 v9, v4
	s_nop 0
	v_addc_co_u32_e32 v11, vcc, 0, v10, vcc
	v_mul_lo_u32 v10, v5, v13
	v_lshl_add_u64 v[8:9], v[8:9], 0, v[10:11]
	v_add_co_u32_e32 v1, vcc, v1, v8
	v_mul_lo_u32 v10, s2, v1
	s_nop 0
	v_addc_co_u32_e32 v5, vcc, v5, v9, vcc
	v_mul_lo_u32 v8, s2, v5
	v_mul_hi_u32 v9, s2, v1
	v_add_u32_e32 v8, v9, v8
	v_mul_lo_u32 v9, s3, v1
	v_add_u32_e32 v12, v8, v9
	v_mul_hi_u32 v14, v5, v10
	v_mul_lo_u32 v15, v5, v10
	v_mul_hi_u32 v9, v1, v12
	v_mul_lo_u32 v8, v1, v12
	v_mul_hi_u32 v10, v1, v10
	v_mov_b32_e32 v11, v4
	v_lshl_add_u64 v[8:9], v[10:11], 0, v[8:9]
	v_add_co_u32_e32 v8, vcc, v8, v15
	v_mul_hi_u32 v13, v5, v12
	s_nop 0
	v_addc_co_u32_e32 v8, vcc, v9, v14, vcc
	v_mul_lo_u32 v10, v5, v12
	s_nop 0
	v_addc_co_u32_e32 v11, vcc, 0, v13, vcc
	v_mov_b32_e32 v9, v4
	v_lshl_add_u64 v[8:9], v[8:9], 0, v[10:11]
	v_add_co_u32_e32 v1, vcc, v1, v8
	v_mul_hi_u32 v10, v6, v1
	s_nop 0
	v_addc_co_u32_e32 v5, vcc, v5, v9, vcc
	v_mad_u64_u32 v[8:9], s[2:3], v6, v5, 0
	v_mov_b32_e32 v11, v4
	v_lshl_add_u64 v[8:9], v[10:11], 0, v[8:9]
	v_mad_u64_u32 v[12:13], s[2:3], v7, v1, 0
	v_add_co_u32_e32 v1, vcc, v8, v12
	v_mad_u64_u32 v[10:11], s[2:3], v7, v5, 0
	s_nop 0
	v_addc_co_u32_e32 v8, vcc, v9, v13, vcc
	v_mov_b32_e32 v9, v4
	s_nop 0
	v_addc_co_u32_e32 v11, vcc, 0, v11, vcc
	v_lshl_add_u64 v[8:9], v[8:9], 0, v[10:11]
	v_mul_lo_u32 v1, s25, v8
	v_mul_lo_u32 v5, s24, v9
	v_mad_u64_u32 v[10:11], s[2:3], s24, v8, 0
	v_add3_u32 v1, v11, v5, v1
	v_sub_u32_e32 v5, v7, v1
	v_mov_b32_e32 v11, s25
	v_sub_co_u32_e32 v14, vcc, v6, v10
	v_lshl_add_u64 v[12:13], v[8:9], 0, 1
	s_nop 0
	v_subb_co_u32_e64 v5, s[2:3], v5, v11, vcc
	v_subrev_co_u32_e64 v10, s[2:3], s24, v14
	v_subb_co_u32_e32 v1, vcc, v7, v1, vcc
	s_nop 0
	v_subbrev_co_u32_e64 v5, s[2:3], 0, v5, s[2:3]
	v_cmp_le_u32_e64 s[2:3], s25, v5
	v_cmp_le_u32_e32 vcc, s25, v1
	s_nop 0
	v_cndmask_b32_e64 v11, 0, -1, s[2:3]
	v_cmp_le_u32_e64 s[2:3], s24, v10
	s_nop 1
	v_cndmask_b32_e64 v10, 0, -1, s[2:3]
	v_cmp_eq_u32_e64 s[2:3], s25, v5
	s_nop 1
	v_cndmask_b32_e64 v5, v11, v10, s[2:3]
	v_lshl_add_u64 v[10:11], v[8:9], 0, 2
	v_cmp_ne_u32_e64 s[2:3], 0, v5
	s_nop 1
	v_cndmask_b32_e64 v5, v13, v11, s[2:3]
	v_cndmask_b32_e64 v11, 0, -1, vcc
	v_cmp_le_u32_e32 vcc, s24, v14
	s_nop 1
	v_cndmask_b32_e64 v13, 0, -1, vcc
	v_cmp_eq_u32_e32 vcc, s25, v1
	s_nop 1
	v_cndmask_b32_e32 v1, v11, v13, vcc
	v_cmp_ne_u32_e32 vcc, 0, v1
	v_cndmask_b32_e64 v1, v12, v10, s[2:3]
	s_nop 0
	v_cndmask_b32_e32 v23, v9, v5, vcc
	v_cndmask_b32_e32 v22, v8, v1, vcc
.LBB0_4:                                ;   in Loop: Header=BB0_2 Depth=1
	s_andn2_saveexec_b64 s[2:3], s[26:27]
	s_cbranch_execz .LBB0_6
; %bb.5:                                ;   in Loop: Header=BB0_2 Depth=1
	v_cvt_f32_u32_e32 v1, s24
	s_sub_i32 s26, 0, s24
	v_mov_b32_e32 v23, v4
	v_rcp_iflag_f32_e32 v1, v1
	s_nop 0
	v_mul_f32_e32 v1, 0x4f7ffffe, v1
	v_cvt_u32_f32_e32 v1, v1
	v_mul_lo_u32 v5, s26, v1
	v_mul_hi_u32 v5, v1, v5
	v_add_u32_e32 v1, v1, v5
	v_mul_hi_u32 v1, v6, v1
	v_mul_lo_u32 v5, v1, s24
	v_sub_u32_e32 v5, v6, v5
	v_add_u32_e32 v8, 1, v1
	v_subrev_u32_e32 v9, s24, v5
	v_cmp_le_u32_e32 vcc, s24, v5
	s_nop 1
	v_cndmask_b32_e32 v5, v5, v9, vcc
	v_cndmask_b32_e32 v1, v1, v8, vcc
	v_add_u32_e32 v8, 1, v1
	v_cmp_le_u32_e32 vcc, s24, v5
	s_nop 1
	v_cndmask_b32_e32 v22, v1, v8, vcc
.LBB0_6:                                ;   in Loop: Header=BB0_2 Depth=1
	s_or_b64 exec, exec, s[2:3]
	v_mad_u64_u32 v[8:9], s[2:3], v22, s24, 0
	s_load_dwordx2 s[2:3], s[18:19], 0x0
	v_mul_lo_u32 v1, v23, s24
	v_mul_lo_u32 v5, v22, s25
	s_load_dwordx2 s[24:25], s[16:17], 0x0
	s_add_u32 s22, s22, 1
	v_add3_u32 v1, v9, v5, v1
	v_sub_co_u32_e32 v5, vcc, v6, v8
	s_addc_u32 s23, s23, 0
	s_nop 0
	v_subb_co_u32_e32 v1, vcc, v7, v1, vcc
	s_add_u32 s16, s16, 8
	s_waitcnt lgkmcnt(0)
	v_mul_lo_u32 v6, s2, v1
	v_mul_lo_u32 v7, s3, v5
	v_mad_u64_u32 v[2:3], s[2:3], s2, v5, v[2:3]
	s_addc_u32 s17, s17, 0
	v_add3_u32 v3, v7, v3, v6
	v_mul_lo_u32 v1, s24, v1
	v_mul_lo_u32 v6, s25, v5
	v_mad_u64_u32 v[20:21], s[2:3], s24, v5, v[20:21]
	s_add_u32 s18, s18, 8
	v_add3_u32 v21, v6, v21, v1
	s_addc_u32 s19, s19, 0
	v_mov_b64_e32 v[6:7], s[10:11]
	s_add_u32 s20, s20, 8
	v_cmp_ge_u64_e32 vcc, s[22:23], v[6:7]
	s_addc_u32 s21, s21, 0
	s_cbranch_vccnz .LBB0_9
; %bb.7:                                ;   in Loop: Header=BB0_2 Depth=1
	v_mov_b64_e32 v[6:7], v[22:23]
	s_branch .LBB0_2
.LBB0_8:
	v_mov_b64_e32 v[20:21], v[2:3]
	v_mov_b64_e32 v[22:23], v[6:7]
.LBB0_9:
	s_load_dwordx2 s[18:19], s[0:1], 0x28
	s_lshl_b64 s[16:17], s[10:11], 3
	s_add_u32 s2, s14, s16
	s_addc_u32 s3, s15, s17
                                        ; implicit-def: $vgpr24
	s_waitcnt lgkmcnt(0)
	v_cmp_gt_u64_e64 s[0:1], s[18:19], v[22:23]
	v_cmp_le_u64_e32 vcc, s[18:19], v[22:23]
	s_and_saveexec_b64 s[10:11], vcc
	s_xor_b64 s[10:11], exec, s[10:11]
; %bb.10:
	s_mov_b32 s14, 0x10624de
	v_mul_hi_u32 v1, v0, s14
	v_mul_u32_u24_e32 v1, 0xfa, v1
	v_sub_u32_e32 v24, v0, v1
                                        ; implicit-def: $vgpr0
                                        ; implicit-def: $vgpr2_vgpr3
; %bb.11:
	s_or_saveexec_b64 s[10:11], s[10:11]
	s_load_dwordx2 s[2:3], s[2:3], 0x0
	s_xor_b64 exec, exec, s[10:11]
	s_cbranch_execz .LBB0_15
; %bb.12:
	s_add_u32 s12, s12, s16
	s_addc_u32 s13, s13, s17
	s_load_dwordx2 s[12:13], s[12:13], 0x0
	s_mov_b32 s14, 0x10624de
	s_waitcnt lgkmcnt(0)
	v_mul_lo_u32 v1, s13, v22
	v_mul_lo_u32 v6, s12, v23
	v_mad_u64_u32 v[4:5], s[12:13], s12, v22, 0
	v_add3_u32 v5, v5, v6, v1
	v_mul_hi_u32 v1, v0, s14
	v_mul_u32_u24_e32 v1, 0xfa, v1
	v_sub_u32_e32 v24, v0, v1
	v_lshl_add_u64 v[0:1], v[4:5], 4, s[4:5]
	v_lshl_add_u64 v[2:3], v[2:3], 4, v[0:1]
	v_lshlrev_b32_e32 v0, 4, v24
	v_mov_b32_e32 v1, 0
	v_lshl_add_u64 v[42:43], v[2:3], 0, v[0:1]
	s_movk_i32 s4, 0x1000
	v_add_co_u32_e32 v26, vcc, s4, v42
	s_movk_i32 s4, 0x2000
	s_nop 0
	v_addc_co_u32_e32 v27, vcc, 0, v43, vcc
	v_add_co_u32_e32 v28, vcc, s4, v42
	s_movk_i32 s4, 0x3000
	s_nop 0
	v_addc_co_u32_e32 v29, vcc, 0, v43, vcc
	;; [unrolled: 4-line block ×5, first 2 shown]
	v_add_co_u32_e32 v46, vcc, s4, v42
	global_load_dwordx4 v[4:7], v[42:43], off
	global_load_dwordx4 v[8:11], v[42:43], off offset:4000
	v_addc_co_u32_e32 v47, vcc, 0, v43, vcc
	v_add_co_u32_e32 v50, vcc, 0x7000, v42
	global_load_dwordx4 v[12:15], v[26:27], off offset:3904
	global_load_dwordx4 v[16:19], v[28:29], off offset:3808
	v_addc_co_u32_e32 v51, vcc, 0, v43, vcc
	v_add_co_u32_e32 v52, vcc, 0x8000, v42
	global_load_dwordx4 v[26:29], v[34:35], off offset:3712
	global_load_dwordx4 v[30:33], v[36:37], off offset:3616
	s_nop 0
	global_load_dwordx4 v[34:37], v[44:45], off offset:3520
	global_load_dwordx4 v[38:41], v[46:47], off offset:3424
	v_addc_co_u32_e32 v53, vcc, 0, v43, vcc
	global_load_dwordx4 v[42:45], v[50:51], off offset:3328
	global_load_dwordx4 v[46:49], v[52:53], off offset:3232
	s_movk_i32 s4, 0xf9
	v_add_u32_e32 v0, 0, v0
	v_cmp_eq_u32_e32 vcc, s4, v24
	s_waitcnt vmcnt(9)
	ds_write_b128 v0, v[4:7]
	s_waitcnt vmcnt(8)
	ds_write_b128 v0, v[8:11] offset:4000
	s_waitcnt vmcnt(7)
	ds_write_b128 v0, v[12:15] offset:8000
	;; [unrolled: 2-line block ×9, first 2 shown]
	s_and_saveexec_b64 s[4:5], vcc
	s_cbranch_execz .LBB0_14
; %bb.13:
	v_add_co_u32_e32 v2, vcc, 0x9000, v2
	v_mov_b32_e32 v24, 0xf9
	s_nop 0
	v_addc_co_u32_e32 v3, vcc, 0, v3, vcc
	global_load_dwordx4 v[2:5], v[2:3], off offset:3136
	s_waitcnt vmcnt(0)
	ds_write_b128 v1, v[2:5] offset:40000
.LBB0_14:
	s_or_b64 exec, exec, s[4:5]
.LBB0_15:
	s_or_b64 exec, exec, s[10:11]
	v_lshlrev_b32_e32 v0, 4, v24
	v_add_u32_e32 v28, 0, v0
	s_waitcnt lgkmcnt(0)
	s_barrier
	v_sub_u32_e32 v10, 0, v0
	ds_read_b64 v[6:7], v28
	ds_read_b64 v[8:9], v10 offset:40000
	s_add_u32 s4, s8, 0x9ba0
	s_addc_u32 s5, s9, 0
	v_cmp_ne_u32_e32 vcc, 0, v24
                                        ; implicit-def: $vgpr4_vgpr5
	s_waitcnt lgkmcnt(0)
	v_add_f64 v[0:1], v[6:7], v[8:9]
	v_add_f64 v[2:3], v[6:7], -v[8:9]
	s_and_saveexec_b64 s[10:11], vcc
	s_xor_b64 s[10:11], exec, s[10:11]
	s_cbranch_execz .LBB0_17
; %bb.16:
	v_mov_b32_e32 v25, 0
	v_lshl_add_u64 v[0:1], v[24:25], 4, s[4:5]
	global_load_dwordx4 v[12:15], v[0:1], off
	ds_read_b64 v[0:1], v10 offset:40008
	ds_read_b64 v[2:3], v28 offset:8
	v_add_f64 v[4:5], v[6:7], v[8:9]
	v_add_f64 v[8:9], v[6:7], -v[8:9]
	s_waitcnt lgkmcnt(0)
	v_add_f64 v[16:17], v[0:1], v[2:3]
	v_add_f64 v[0:1], v[2:3], -v[0:1]
	s_waitcnt vmcnt(0)
	v_fma_f64 v[18:19], v[8:9], v[14:15], v[4:5]
	v_fma_f64 v[4:5], -v[8:9], v[14:15], v[4:5]
	v_fma_f64 v[6:7], v[16:17], v[14:15], -v[0:1]
	v_fma_f64 v[2:3], v[16:17], v[14:15], v[0:1]
	v_fmac_f64_e32 v[4:5], v[16:17], v[12:13]
	v_fmac_f64_e32 v[6:7], v[8:9], v[12:13]
	v_fma_f64 v[0:1], -v[16:17], v[12:13], v[18:19]
	v_fmac_f64_e32 v[2:3], v[8:9], v[12:13]
	ds_write_b128 v10, v[4:7] offset:40000
	v_mov_b64_e32 v[4:5], v[24:25]
.LBB0_17:
	s_andn2_saveexec_b64 s[10:11], s[10:11]
	s_cbranch_execz .LBB0_19
; %bb.18:
	v_mov_b32_e32 v8, 0
	ds_read_b128 v[4:7], v8 offset:20000
	s_waitcnt lgkmcnt(0)
	v_add_f64 v[4:5], v[4:5], v[4:5]
	v_mul_f64 v[6:7], v[6:7], -2.0
	ds_write_b128 v8, v[4:7] offset:20000
	v_mov_b64_e32 v[4:5], 0
.LBB0_19:
	s_or_b64 exec, exec, s[10:11]
	v_lshl_add_u64 v[8:9], v[4:5], 4, s[4:5]
	global_load_dwordx4 v[4:7], v[8:9], off offset:4000
	s_movk_i32 s24, 0x1000
	v_add_co_u32_e32 v12, vcc, s24, v8
	s_movk_i32 s4, 0x2000
	s_nop 0
	v_addc_co_u32_e32 v13, vcc, 0, v9, vcc
	global_load_dwordx4 v[12:15], v[12:13], off offset:3904
	v_add_co_u32_e32 v16, vcc, s4, v8
	s_movk_i32 s4, 0x3000
	s_nop 0
	v_addc_co_u32_e32 v17, vcc, 0, v9, vcc
	global_load_dwordx4 v[16:19], v[16:17], off offset:3808
	v_add_co_u32_e32 v8, vcc, s4, v8
	ds_write_b128 v28, v[0:3]
	s_nop 0
	v_addc_co_u32_e32 v9, vcc, 0, v9, vcc
	global_load_dwordx4 v[30:33], v[8:9], off offset:3712
	ds_read_b128 v[0:3], v28 offset:4000
	ds_read_b128 v[34:37], v10 offset:36000
	s_mov_b32 s14, 0x134454ff
	s_mov_b32 s15, 0xbfee6f0e
	;; [unrolled: 1-line block ×4, first 2 shown]
	s_waitcnt lgkmcnt(0)
	v_add_f64 v[8:9], v[0:1], v[34:35]
	v_add_f64 v[26:27], v[36:37], v[2:3]
	v_add_f64 v[38:39], v[0:1], -v[34:35]
	v_add_f64 v[0:1], v[2:3], -v[36:37]
	s_mov_b32 s12, s14
	s_mov_b32 s11, 0xbfe2cf23
	;; [unrolled: 1-line block ×12, first 2 shown]
	s_movk_i32 s25, 0x90
	v_mad_u32_u24 v25, v24, s25, v28
	s_movk_i32 s25, 0xcd
	s_waitcnt vmcnt(3)
	v_fma_f64 v[40:41], v[38:39], v[6:7], v[8:9]
	v_fma_f64 v[2:3], v[26:27], v[6:7], v[0:1]
	v_fma_f64 v[34:35], -v[38:39], v[6:7], v[8:9]
	v_fma_f64 v[36:37], v[26:27], v[6:7], -v[0:1]
	v_fma_f64 v[0:1], -v[26:27], v[4:5], v[40:41]
	v_fmac_f64_e32 v[2:3], v[38:39], v[4:5]
	v_fmac_f64_e32 v[34:35], v[26:27], v[4:5]
	v_fmac_f64_e32 v[36:37], v[38:39], v[4:5]
	ds_write_b128 v28, v[0:3] offset:4000
	ds_write_b128 v10, v[34:37] offset:36000
	ds_read_b128 v[0:3], v28 offset:8000
	ds_read_b128 v[4:7], v10 offset:32000
	s_waitcnt lgkmcnt(0)
	v_add_f64 v[8:9], v[0:1], v[4:5]
	v_add_f64 v[26:27], v[6:7], v[2:3]
	v_add_f64 v[34:35], v[0:1], -v[4:5]
	v_add_f64 v[0:1], v[2:3], -v[6:7]
	s_waitcnt vmcnt(2)
	v_fma_f64 v[36:37], v[34:35], v[14:15], v[8:9]
	v_fma_f64 v[2:3], v[26:27], v[14:15], v[0:1]
	v_fma_f64 v[4:5], -v[34:35], v[14:15], v[8:9]
	v_fma_f64 v[6:7], v[26:27], v[14:15], -v[0:1]
	v_fma_f64 v[0:1], -v[26:27], v[12:13], v[36:37]
	v_fmac_f64_e32 v[2:3], v[34:35], v[12:13]
	v_fmac_f64_e32 v[4:5], v[26:27], v[12:13]
	v_fmac_f64_e32 v[6:7], v[34:35], v[12:13]
	ds_write_b128 v28, v[0:3] offset:8000
	ds_write_b128 v10, v[4:7] offset:32000
	ds_read_b128 v[0:3], v28 offset:12000
	ds_read_b128 v[4:7], v10 offset:28000
	s_waitcnt lgkmcnt(0)
	v_add_f64 v[8:9], v[0:1], v[4:5]
	v_add_f64 v[12:13], v[6:7], v[2:3]
	v_add_f64 v[14:15], v[0:1], -v[4:5]
	v_add_f64 v[0:1], v[2:3], -v[6:7]
	;; [unrolled: 18-line block ×3, first 2 shown]
	s_waitcnt vmcnt(0)
	v_fma_f64 v[16:17], v[14:15], v[32:33], v[8:9]
	v_fma_f64 v[2:3], v[12:13], v[32:33], v[0:1]
	v_fma_f64 v[4:5], -v[14:15], v[32:33], v[8:9]
	v_fma_f64 v[6:7], v[12:13], v[32:33], -v[0:1]
	v_fma_f64 v[0:1], -v[12:13], v[30:31], v[16:17]
	v_fmac_f64_e32 v[2:3], v[14:15], v[30:31]
	v_fmac_f64_e32 v[4:5], v[12:13], v[30:31]
	;; [unrolled: 1-line block ×3, first 2 shown]
	ds_write_b128 v28, v[0:3] offset:16000
	ds_write_b128 v10, v[4:7] offset:24000
	s_waitcnt lgkmcnt(0)
	s_barrier
	s_barrier
	ds_read_b128 v[0:3], v28
	ds_read_b128 v[8:11], v28 offset:8000
	ds_read_b128 v[4:7], v28 offset:4000
	;; [unrolled: 1-line block ×9, first 2 shown]
	s_waitcnt lgkmcnt(8)
	v_add_f64 v[26:27], v[0:1], v[8:9]
	s_waitcnt lgkmcnt(4)
	v_add_f64 v[50:51], v[12:13], v[30:31]
	v_add_f64 v[56:57], v[8:9], -v[12:13]
	v_add_f64 v[62:63], v[12:13], -v[8:9]
	;; [unrolled: 1-line block ×3, first 2 shown]
	v_add_f64 v[12:13], v[26:27], v[12:13]
	v_add_f64 v[12:13], v[12:13], v[30:31]
	s_waitcnt lgkmcnt(2)
	v_add_f64 v[58:59], v[38:39], -v[30:31]
	v_add_f64 v[60:61], v[8:9], v[38:39]
	v_add_f64 v[64:65], v[30:31], -v[38:39]
	v_add_f64 v[66:67], v[2:3], v[10:11]
	;; [unrolled: 2-line block ×3, first 2 shown]
	v_add_f64 v[38:39], v[6:7], v[18:19]
	v_add_f64 v[54:55], v[14:15], -v[32:33]
	v_add_f64 v[68:69], v[14:15], v[32:33]
	v_add_f64 v[70:71], v[10:11], -v[14:15]
	v_add_f64 v[74:75], v[14:15], -v[10:11]
	v_add_f64 v[14:15], v[66:67], v[14:15]
	v_add_f64 v[38:39], v[38:39], v[36:37]
	v_add_f64 v[26:27], v[40:41], -v[32:33]
	v_add_f64 v[14:15], v[14:15], v[32:33]
	v_add_f64 v[30:31], v[32:33], -v[40:41]
	v_add_f64 v[32:33], v[4:5], v[16:17]
	s_waitcnt lgkmcnt(1)
	v_add_f64 v[38:39], v[38:39], v[44:45]
	v_add_f64 v[52:53], v[10:11], -v[40:41]
	v_add_f64 v[32:33], v[32:33], v[34:35]
	v_add_f64 v[66:67], v[36:37], -v[44:45]
	;; [unrolled: 2-line block ×3, first 2 shown]
	v_add_f64 v[36:37], v[36:37], -v[18:19]
	s_waitcnt lgkmcnt(0)
	v_add_f64 v[84:85], v[18:19], -v[48:49]
	v_add_f64 v[18:19], v[18:19], v[48:49]
	v_add_f64 v[90:91], v[48:49], -v[44:45]
	v_add_f64 v[44:45], v[44:45], -v[48:49]
	v_add_f64 v[38:39], v[38:39], v[48:49]
	v_fma_f64 v[48:49], -0.5, v[50:51], v[0:1]
	v_add_f64 v[32:33], v[32:33], v[42:43]
	v_fma_f64 v[50:51], s[14:15], v[52:53], v[48:49]
	v_fmac_f64_e32 v[48:49], s[12:13], v[52:53]
	v_fmac_f64_e32 v[0:1], -0.5, v[60:61]
	v_add_f64 v[10:11], v[10:11], v[40:41]
	v_add_f64 v[14:15], v[14:15], v[40:41]
	v_add_f64 v[40:41], v[34:35], v[42:43]
	v_add_f64 v[76:77], v[16:17], -v[34:35]
	v_add_f64 v[78:79], v[34:35], -v[16:17]
	;; [unrolled: 1-line block ×3, first 2 shown]
	v_add_f64 v[86:87], v[16:17], v[46:47]
	v_add_f64 v[16:17], v[16:17], -v[46:47]
	v_add_f64 v[88:89], v[46:47], -v[42:43]
	;; [unrolled: 1-line block ×3, first 2 shown]
	v_add_f64 v[32:33], v[32:33], v[46:47]
	v_add_f64 v[46:47], v[56:57], v[58:59]
	v_fmac_f64_e32 v[50:51], s[10:11], v[54:55]
	v_fmac_f64_e32 v[48:49], s[16:17], v[54:55]
	v_fma_f64 v[56:57], s[12:13], v[54:55], v[0:1]
	v_fmac_f64_e32 v[0:1], s[14:15], v[54:55]
	v_fmac_f64_e32 v[50:51], s[4:5], v[46:47]
	;; [unrolled: 1-line block ×3, first 2 shown]
	v_add_f64 v[46:47], v[62:63], v[64:65]
	v_fmac_f64_e32 v[56:57], s[10:11], v[52:53]
	v_fmac_f64_e32 v[0:1], s[16:17], v[52:53]
	v_fma_f64 v[52:53], -0.5, v[68:69], v[2:3]
	v_fmac_f64_e32 v[56:57], s[4:5], v[46:47]
	v_fmac_f64_e32 v[0:1], s[4:5], v[46:47]
	v_fma_f64 v[46:47], s[12:13], v[8:9], v[52:53]
	v_fmac_f64_e32 v[52:53], s[14:15], v[8:9]
	v_add_f64 v[26:27], v[70:71], v[26:27]
	v_fmac_f64_e32 v[46:47], s[16:17], v[72:73]
	v_fmac_f64_e32 v[52:53], s[10:11], v[72:73]
	v_fmac_f64_e32 v[2:3], -0.5, v[10:11]
	v_fmac_f64_e32 v[46:47], s[4:5], v[26:27]
	v_fmac_f64_e32 v[52:53], s[4:5], v[26:27]
	v_fma_f64 v[26:27], s[14:15], v[72:73], v[2:3]
	v_fmac_f64_e32 v[2:3], s[12:13], v[72:73]
	v_add_f64 v[10:11], v[74:75], v[30:31]
	v_fmac_f64_e32 v[26:27], s[16:17], v[8:9]
	v_fmac_f64_e32 v[2:3], s[10:11], v[8:9]
	v_fma_f64 v[30:31], -0.5, v[40:41], v[4:5]
	v_fmac_f64_e32 v[26:27], s[4:5], v[10:11]
	v_fmac_f64_e32 v[2:3], s[4:5], v[10:11]
	v_fma_f64 v[10:11], s[14:15], v[84:85], v[30:31]
	v_fmac_f64_e32 v[30:31], s[12:13], v[84:85]
	v_add_f64 v[8:9], v[76:77], v[88:89]
	v_fmac_f64_e32 v[10:11], s[10:11], v[66:67]
	v_fmac_f64_e32 v[30:31], s[16:17], v[66:67]
	v_fmac_f64_e32 v[4:5], -0.5, v[86:87]
	v_fmac_f64_e32 v[10:11], s[4:5], v[8:9]
	v_fmac_f64_e32 v[30:31], s[4:5], v[8:9]
	v_add_f64 v[8:9], v[78:79], v[42:43]
	v_fma_f64 v[40:41], s[12:13], v[66:67], v[4:5]
	v_fmac_f64_e32 v[4:5], s[14:15], v[66:67]
	v_fma_f64 v[42:43], -0.5, v[80:81], v[6:7]
	v_fmac_f64_e32 v[40:41], s[10:11], v[84:85]
	v_fmac_f64_e32 v[4:5], s[16:17], v[84:85]
	v_fma_f64 v[54:55], s[12:13], v[16:17], v[42:43]
	v_fmac_f64_e32 v[42:43], s[14:15], v[16:17]
	v_fmac_f64_e32 v[6:7], -0.5, v[18:19]
	v_fmac_f64_e32 v[40:41], s[4:5], v[8:9]
	v_fmac_f64_e32 v[4:5], s[4:5], v[8:9]
	v_add_f64 v[8:9], v[82:83], v[90:91]
	v_fmac_f64_e32 v[54:55], s[16:17], v[34:35]
	v_fmac_f64_e32 v[42:43], s[10:11], v[34:35]
	v_fma_f64 v[18:19], s[14:15], v[34:35], v[6:7]
	v_fmac_f64_e32 v[6:7], s[12:13], v[34:35]
	v_fmac_f64_e32 v[54:55], s[4:5], v[8:9]
	;; [unrolled: 1-line block ×3, first 2 shown]
	v_add_f64 v[8:9], v[36:37], v[44:45]
	v_fmac_f64_e32 v[6:7], s[10:11], v[16:17]
	v_fmac_f64_e32 v[18:19], s[16:17], v[16:17]
	;; [unrolled: 1-line block ×4, first 2 shown]
	v_mul_f64 v[34:35], v[54:55], s[10:11]
	v_mul_f64 v[58:59], v[6:7], s[14:15]
	;; [unrolled: 1-line block ×3, first 2 shown]
	v_fmac_f64_e32 v[34:35], s[18:19], v[10:11]
	v_fmac_f64_e32 v[58:59], s[20:21], v[4:5]
	v_mul_f64 v[60:61], v[6:7], s[20:21]
	v_fmac_f64_e32 v[36:37], s[18:19], v[54:55]
	v_mul_f64 v[44:45], v[18:19], s[14:15]
	v_mul_f64 v[54:55], v[18:19], s[4:5]
	;; [unrolled: 1-line block ×4, first 2 shown]
	v_add_f64 v[8:9], v[12:13], v[32:33]
	v_fmac_f64_e32 v[60:61], s[12:13], v[4:5]
	v_add_f64 v[4:5], v[50:51], v[34:35]
	v_fmac_f64_e32 v[44:45], s[4:5], v[40:41]
	;; [unrolled: 2-line block ×3, first 2 shown]
	v_fmac_f64_e32 v[62:63], s[22:23], v[30:31]
	v_fmac_f64_e32 v[64:65], s[16:17], v[30:31]
	v_add_f64 v[30:31], v[50:51], -v[34:35]
	v_add_f64 v[34:35], v[0:1], v[58:59]
	v_add_f64 v[0:1], v[0:1], -v[58:59]
	v_add_f64 v[12:13], v[12:13], -v[32:33]
	;; [unrolled: 1-line block ×3, first 2 shown]
	v_add_f64 v[16:17], v[56:57], v[44:45]
	v_add_f64 v[6:7], v[46:47], v[36:37]
	v_add_f64 v[32:33], v[46:47], -v[36:37]
	v_add_f64 v[18:19], v[26:27], v[54:55]
	v_add_f64 v[38:39], v[56:57], -v[44:45]
	v_add_f64 v[40:41], v[26:27], -v[54:55]
	v_add_f64 v[42:43], v[48:49], v[62:63]
	v_add_f64 v[36:37], v[2:3], v[60:61]
	;; [unrolled: 1-line block ×3, first 2 shown]
	v_add_f64 v[46:47], v[48:49], -v[62:63]
	v_add_f64 v[2:3], v[2:3], -v[60:61]
	;; [unrolled: 1-line block ×3, first 2 shown]
	s_barrier
	ds_write_b128 v25, v[8:11]
	ds_write_b128 v25, v[4:7] offset:16
	ds_write_b128 v25, v[16:19] offset:32
	;; [unrolled: 1-line block ×9, first 2 shown]
	v_mul_lo_u16_sdwa v0, v24, s25 dst_sel:DWORD dst_unused:UNUSED_PAD src0_sel:BYTE_0 src1_sel:DWORD
	v_lshrrev_b16_e32 v29, 11, v0
	v_mul_lo_u16_e32 v0, 10, v29
	v_sub_u16_e32 v74, v24, v0
	v_mov_b32_e32 v0, 6
	v_lshlrev_b32_sdwa v8, v0, v74 dst_sel:DWORD dst_unused:UNUSED_PAD src0_sel:DWORD src1_sel:BYTE_0
	s_waitcnt lgkmcnt(0)
	s_barrier
	global_load_dwordx4 v[16:19], v8, s[8:9]
	global_load_dwordx4 v[12:15], v8, s[8:9] offset:16
	global_load_dwordx4 v[4:7], v8, s[8:9] offset:32
	;; [unrolled: 1-line block ×3, first 2 shown]
	v_add_u32_e32 v25, 0xfa, v24
	s_mov_b32 s25, 0xcccd
	v_mul_u32_u24_sdwa v8, v25, s25 dst_sel:DWORD dst_unused:UNUSED_PAD src0_sel:WORD_0 src1_sel:DWORD
	v_lshrrev_b32_e32 v75, 19, v8
	v_mul_lo_u16_e32 v8, 10, v75
	v_sub_u16_e32 v76, v25, v8
	v_lshlrev_b32_e32 v8, 6, v76
	global_load_dwordx4 v[30:33], v8, s[8:9]
	global_load_dwordx4 v[34:37], v8, s[8:9] offset:16
	global_load_dwordx4 v[38:41], v8, s[8:9] offset:32
	;; [unrolled: 1-line block ×3, first 2 shown]
	ds_read_b128 v[46:49], v28 offset:8000
	ds_read_b128 v[8:11], v28 offset:4000
	;; [unrolled: 1-line block ×3, first 2 shown]
	s_waitcnt vmcnt(7) lgkmcnt(2)
	v_mul_f64 v[26:27], v[48:49], v[18:19]
	v_mul_f64 v[18:19], v[46:47], v[18:19]
	v_fmac_f64_e32 v[26:27], v[46:47], v[16:17]
	v_fma_f64 v[54:55], v[48:49], v[16:17], -v[18:19]
	ds_read_b128 v[16:19], v28 offset:12000
	ds_read_b128 v[46:49], v28 offset:24000
	s_waitcnt vmcnt(6) lgkmcnt(2)
	v_mul_f64 v[56:57], v[52:53], v[14:15]
	v_mul_f64 v[14:15], v[50:51], v[14:15]
	v_fmac_f64_e32 v[56:57], v[50:51], v[12:13]
	v_fma_f64 v[58:59], v[52:53], v[12:13], -v[14:15]
	ds_read_b128 v[12:15], v28 offset:20000
	ds_read_b128 v[50:53], v28 offset:32000
	s_waitcnt vmcnt(5) lgkmcnt(2)
	v_mul_f64 v[60:61], v[48:49], v[6:7]
	v_mul_f64 v[6:7], v[46:47], v[6:7]
	v_fmac_f64_e32 v[60:61], v[46:47], v[4:5]
	v_fma_f64 v[46:47], v[48:49], v[4:5], -v[6:7]
	ds_read_b128 v[4:7], v28 offset:28000
	s_waitcnt vmcnt(4) lgkmcnt(1)
	v_mul_f64 v[48:49], v[52:53], v[2:3]
	v_mul_f64 v[2:3], v[50:51], v[2:3]
	v_fmac_f64_e32 v[48:49], v[50:51], v[0:1]
	v_fma_f64 v[50:51], v[52:53], v[0:1], -v[2:3]
	s_waitcnt vmcnt(3)
	v_mul_f64 v[62:63], v[18:19], v[32:33]
	v_mul_f64 v[0:1], v[16:17], v[32:33]
	v_fmac_f64_e32 v[62:63], v[16:17], v[30:31]
	v_fma_f64 v[16:17], v[18:19], v[30:31], -v[0:1]
	s_waitcnt vmcnt(2)
	v_mul_f64 v[0:1], v[12:13], v[36:37]
	v_fma_f64 v[64:65], v[14:15], v[34:35], -v[0:1]
	ds_read_b128 v[0:3], v28 offset:36000
	s_waitcnt vmcnt(1) lgkmcnt(1)
	v_mul_f64 v[66:67], v[6:7], v[40:41]
	v_fmac_f64_e32 v[66:67], v[4:5], v[38:39]
	v_mul_f64 v[4:5], v[4:5], v[40:41]
	v_fma_f64 v[68:69], v[6:7], v[38:39], -v[4:5]
	ds_read_b128 v[4:7], v28
	s_waitcnt vmcnt(0) lgkmcnt(1)
	v_mul_f64 v[70:71], v[2:3], v[44:45]
	v_fmac_f64_e32 v[70:71], v[0:1], v[42:43]
	v_mul_f64 v[0:1], v[0:1], v[44:45]
	v_mul_f64 v[18:19], v[14:15], v[36:37]
	v_fma_f64 v[72:73], v[2:3], v[42:43], -v[0:1]
	v_add_f64 v[0:1], v[56:57], v[60:61]
	v_fmac_f64_e32 v[18:19], v[12:13], v[34:35]
	s_waitcnt lgkmcnt(0)
	v_fma_f64 v[0:1], -0.5, v[0:1], v[4:5]
	v_add_f64 v[2:3], v[26:27], -v[56:57]
	v_add_f64 v[12:13], v[48:49], -v[60:61]
	;; [unrolled: 1-line block ×3, first 2 shown]
	v_add_f64 v[2:3], v[2:3], v[12:13]
	v_add_f64 v[32:33], v[58:59], -v[46:47]
	v_fma_f64 v[12:13], s[14:15], v[14:15], v[0:1]
	v_fmac_f64_e32 v[0:1], s[12:13], v[14:15]
	v_fmac_f64_e32 v[12:13], s[10:11], v[32:33]
	;; [unrolled: 1-line block ×3, first 2 shown]
	v_add_f64 v[30:31], v[26:27], v[48:49]
	v_fmac_f64_e32 v[12:13], s[4:5], v[2:3]
	v_fmac_f64_e32 v[0:1], s[4:5], v[2:3]
	v_add_f64 v[2:3], v[4:5], v[26:27]
	v_fmac_f64_e32 v[4:5], -0.5, v[30:31]
	v_add_f64 v[30:31], v[56:57], -v[26:27]
	v_add_f64 v[34:35], v[60:61], -v[48:49]
	v_add_f64 v[34:35], v[30:31], v[34:35]
	v_fma_f64 v[30:31], s[12:13], v[32:33], v[4:5]
	v_fmac_f64_e32 v[4:5], s[14:15], v[32:33]
	v_fmac_f64_e32 v[30:31], s[10:11], v[14:15]
	;; [unrolled: 1-line block ×3, first 2 shown]
	v_add_f64 v[2:3], v[2:3], v[56:57]
	v_add_f64 v[14:15], v[6:7], v[54:55]
	;; [unrolled: 1-line block ×4, first 2 shown]
	v_fmac_f64_e32 v[30:31], s[4:5], v[34:35]
	v_fmac_f64_e32 v[4:5], s[4:5], v[34:35]
	v_add_f64 v[14:15], v[14:15], v[46:47]
	v_add_f64 v[34:35], v[2:3], v[48:49]
	;; [unrolled: 1-line block ×4, first 2 shown]
	v_fma_f64 v[2:3], -0.5, v[2:3], v[6:7]
	v_add_f64 v[26:27], v[26:27], -v[48:49]
	v_add_f64 v[14:15], v[54:55], -v[58:59]
	;; [unrolled: 1-line block ×4, first 2 shown]
	v_add_f64 v[32:33], v[14:15], v[32:33]
	v_fma_f64 v[14:15], s[12:13], v[26:27], v[2:3]
	v_fmac_f64_e32 v[2:3], s[14:15], v[26:27]
	v_fmac_f64_e32 v[14:15], s[16:17], v[38:39]
	;; [unrolled: 1-line block ×5, first 2 shown]
	v_add_f64 v[32:33], v[54:55], v[50:51]
	v_fmac_f64_e32 v[6:7], -0.5, v[32:33]
	v_fma_f64 v[32:33], s[14:15], v[38:39], v[6:7]
	v_fmac_f64_e32 v[6:7], s[12:13], v[38:39]
	v_add_f64 v[40:41], v[58:59], -v[54:55]
	v_add_f64 v[42:43], v[46:47], -v[50:51]
	v_fmac_f64_e32 v[32:33], s[16:17], v[26:27]
	v_fmac_f64_e32 v[6:7], s[10:11], v[26:27]
	v_add_f64 v[26:27], v[62:63], -v[18:19]
	v_add_f64 v[38:39], v[70:71], -v[66:67]
	v_add_f64 v[40:41], v[40:41], v[42:43]
	v_add_f64 v[26:27], v[26:27], v[38:39]
	;; [unrolled: 1-line block ×3, first 2 shown]
	v_fmac_f64_e32 v[32:33], s[4:5], v[40:41]
	v_fmac_f64_e32 v[6:7], s[4:5], v[40:41]
	v_fma_f64 v[38:39], -0.5, v[38:39], v[8:9]
	v_add_f64 v[40:41], v[16:17], -v[72:73]
	v_add_f64 v[44:45], v[64:65], -v[68:69]
	v_fma_f64 v[42:43], s[14:15], v[40:41], v[38:39]
	v_fmac_f64_e32 v[38:39], s[12:13], v[40:41]
	v_fmac_f64_e32 v[42:43], s[10:11], v[44:45]
	;; [unrolled: 1-line block ×3, first 2 shown]
	v_add_f64 v[46:47], v[62:63], v[70:71]
	v_fmac_f64_e32 v[42:43], s[4:5], v[26:27]
	v_fmac_f64_e32 v[38:39], s[4:5], v[26:27]
	v_add_f64 v[26:27], v[8:9], v[62:63]
	v_fmac_f64_e32 v[8:9], -0.5, v[46:47]
	v_add_f64 v[46:47], v[18:19], -v[62:63]
	v_add_f64 v[48:49], v[66:67], -v[70:71]
	v_add_f64 v[48:49], v[46:47], v[48:49]
	v_fma_f64 v[46:47], s[12:13], v[44:45], v[8:9]
	v_fmac_f64_e32 v[8:9], s[14:15], v[44:45]
	v_fmac_f64_e32 v[46:47], s[10:11], v[40:41]
	;; [unrolled: 1-line block ×3, first 2 shown]
	v_add_f64 v[26:27], v[26:27], v[18:19]
	v_add_f64 v[40:41], v[10:11], v[16:17]
	;; [unrolled: 1-line block ×7, first 2 shown]
	v_fmac_f64_e32 v[46:47], s[4:5], v[48:49]
	v_fmac_f64_e32 v[8:9], s[4:5], v[48:49]
	v_add_f64 v[52:53], v[40:41], v[72:73]
	v_fma_f64 v[40:41], -0.5, v[26:27], v[10:11]
	v_add_f64 v[26:27], v[62:63], -v[70:71]
	v_add_f64 v[44:45], v[16:17], -v[64:65]
	;; [unrolled: 1-line block ×4, first 2 shown]
	v_add_f64 v[48:49], v[44:45], v[48:49]
	v_fma_f64 v[44:45], s[12:13], v[26:27], v[40:41]
	v_fmac_f64_e32 v[40:41], s[14:15], v[26:27]
	v_fmac_f64_e32 v[44:45], s[16:17], v[18:19]
	;; [unrolled: 1-line block ×5, first 2 shown]
	v_add_f64 v[48:49], v[16:17], v[72:73]
	v_fmac_f64_e32 v[10:11], -0.5, v[48:49]
	v_add_f64 v[16:17], v[64:65], -v[16:17]
	v_add_f64 v[48:49], v[68:69], -v[72:73]
	v_add_f64 v[16:17], v[16:17], v[48:49]
	v_fma_f64 v[48:49], s[14:15], v[18:19], v[10:11]
	v_fmac_f64_e32 v[10:11], s[12:13], v[18:19]
	v_fmac_f64_e32 v[48:49], s[16:17], v[26:27]
	;; [unrolled: 1-line block ×5, first 2 shown]
	v_mov_b32_e32 v16, 4
	v_mul_u32_u24_e32 v17, 0x320, v29
	v_lshlrev_b32_sdwa v18, v16, v74 dst_sel:DWORD dst_unused:UNUSED_PAD src0_sel:DWORD src1_sel:BYTE_0
	v_add3_u32 v17, 0, v17, v18
	s_barrier
	ds_write_b128 v17, v[34:37]
	ds_write_b128 v17, v[12:15] offset:160
	ds_write_b128 v17, v[30:33] offset:320
	;; [unrolled: 1-line block ×4, first 2 shown]
	v_mul_u32_u24_e32 v0, 0x320, v75
	v_lshlrev_b32_e32 v1, 4, v76
	v_add3_u32 v0, 0, v0, v1
	ds_write_b128 v0, v[50:53]
	ds_write_b128 v0, v[42:45] offset:160
	ds_write_b128 v0, v[46:49] offset:320
	;; [unrolled: 1-line block ×4, first 2 shown]
	v_mov_b32_e32 v0, 41
	v_mul_lo_u16_sdwa v0, v24, v0 dst_sel:DWORD dst_unused:UNUSED_PAD src0_sel:BYTE_0 src1_sel:DWORD
	v_lshrrev_b16_e32 v17, 11, v0
	v_mul_lo_u16_e32 v0, 50, v17
	v_sub_u16_e32 v18, v24, v0
	v_mov_b32_e32 v0, 9
	v_mul_u32_u24_sdwa v0, v18, v0 dst_sel:DWORD dst_unused:UNUSED_PAD src0_sel:BYTE_0 src1_sel:DWORD
	v_lshlrev_b32_e32 v4, 4, v0
	s_waitcnt lgkmcnt(0)
	s_barrier
	global_load_dwordx4 v[0:3], v4, s[8:9] offset:640
	global_load_dwordx4 v[8:11], v4, s[8:9] offset:656
	;; [unrolled: 1-line block ×9, first 2 shown]
	ds_read_b128 v[54:57], v28 offset:4000
	ds_read_b128 v[58:61], v28 offset:8000
	s_waitcnt vmcnt(8) lgkmcnt(1)
	v_mul_f64 v[4:5], v[56:57], v[2:3]
	v_mul_f64 v[2:3], v[54:55], v[2:3]
	v_fmac_f64_e32 v[4:5], v[54:55], v[0:1]
	v_fma_f64 v[6:7], v[56:57], v[0:1], -v[2:3]
	ds_read_b128 v[0:3], v28 offset:12000
	s_waitcnt vmcnt(7) lgkmcnt(1)
	v_mul_f64 v[26:27], v[60:61], v[10:11]
	v_mul_f64 v[10:11], v[58:59], v[10:11]
	v_fmac_f64_e32 v[26:27], v[58:59], v[8:9]
	v_fma_f64 v[54:55], v[60:61], v[8:9], -v[10:11]
	ds_read_b128 v[8:11], v28 offset:16000
	s_waitcnt vmcnt(6) lgkmcnt(1)
	v_mul_f64 v[56:57], v[2:3], v[14:15]
	v_fmac_f64_e32 v[56:57], v[0:1], v[12:13]
	v_mul_f64 v[0:1], v[0:1], v[14:15]
	v_fma_f64 v[14:15], v[2:3], v[12:13], -v[0:1]
	s_waitcnt vmcnt(5) lgkmcnt(0)
	v_mul_f64 v[58:59], v[10:11], v[32:33]
	ds_read_b128 v[0:3], v28 offset:20000
	v_fmac_f64_e32 v[58:59], v[8:9], v[30:31]
	v_mul_f64 v[8:9], v[8:9], v[32:33]
	v_fma_f64 v[60:61], v[10:11], v[30:31], -v[8:9]
	ds_read_b128 v[8:11], v28 offset:24000
	s_waitcnt vmcnt(4) lgkmcnt(1)
	v_mul_f64 v[62:63], v[2:3], v[36:37]
	v_fmac_f64_e32 v[62:63], v[0:1], v[34:35]
	v_mul_f64 v[0:1], v[0:1], v[36:37]
	v_fma_f64 v[34:35], v[2:3], v[34:35], -v[0:1]
	s_waitcnt vmcnt(3) lgkmcnt(0)
	v_mul_f64 v[36:37], v[10:11], v[40:41]
	ds_read_b128 v[0:3], v28 offset:28000
	v_fmac_f64_e32 v[36:37], v[8:9], v[38:39]
	v_mul_f64 v[8:9], v[8:9], v[40:41]
	v_fma_f64 v[38:39], v[10:11], v[38:39], -v[8:9]
	ds_read_b128 v[8:11], v28 offset:32000
	s_waitcnt vmcnt(2) lgkmcnt(1)
	v_mul_f64 v[40:41], v[2:3], v[44:45]
	v_fmac_f64_e32 v[40:41], v[0:1], v[42:43]
	v_mul_f64 v[0:1], v[0:1], v[44:45]
	ds_read_b128 v[30:33], v28 offset:36000
	v_fma_f64 v[42:43], v[2:3], v[42:43], -v[0:1]
	s_waitcnt vmcnt(1) lgkmcnt(1)
	v_mul_f64 v[44:45], v[10:11], v[48:49]
	v_mul_f64 v[0:1], v[8:9], v[48:49]
	v_fmac_f64_e32 v[44:45], v[8:9], v[46:47]
	v_fma_f64 v[46:47], v[10:11], v[46:47], -v[0:1]
	ds_read_b128 v[0:3], v28
	s_waitcnt vmcnt(0) lgkmcnt(1)
	v_mul_f64 v[48:49], v[32:33], v[52:53]
	v_mul_f64 v[8:9], v[30:31], v[52:53]
	v_fmac_f64_e32 v[48:49], v[30:31], v[50:51]
	v_fma_f64 v[30:31], v[32:33], v[50:51], -v[8:9]
	v_add_f64 v[8:9], v[58:59], v[36:37]
	s_waitcnt lgkmcnt(0)
	v_fma_f64 v[8:9], -0.5, v[8:9], v[0:1]
	v_add_f64 v[10:11], v[26:27], -v[58:59]
	v_add_f64 v[12:13], v[44:45], -v[36:37]
	;; [unrolled: 1-line block ×3, first 2 shown]
	v_add_f64 v[12:13], v[10:11], v[12:13]
	v_fma_f64 v[10:11], s[14:15], v[32:33], v[8:9]
	v_add_f64 v[50:51], v[60:61], -v[38:39]
	v_fmac_f64_e32 v[8:9], s[12:13], v[32:33]
	v_fmac_f64_e32 v[10:11], s[10:11], v[50:51]
	;; [unrolled: 1-line block ×5, first 2 shown]
	v_add_f64 v[12:13], v[26:27], v[44:45]
	v_add_f64 v[52:53], v[0:1], v[26:27]
	v_fmac_f64_e32 v[0:1], -0.5, v[12:13]
	v_add_f64 v[12:13], v[58:59], -v[26:27]
	v_add_f64 v[64:65], v[36:37], -v[44:45]
	v_add_f64 v[64:65], v[12:13], v[64:65]
	v_fma_f64 v[12:13], s[12:13], v[50:51], v[0:1]
	v_fmac_f64_e32 v[0:1], s[14:15], v[50:51]
	v_fmac_f64_e32 v[12:13], s[10:11], v[32:33]
	;; [unrolled: 1-line block ×3, first 2 shown]
	v_add_f64 v[32:33], v[52:53], v[58:59]
	v_add_f64 v[32:33], v[32:33], v[36:37]
	;; [unrolled: 1-line block ×3, first 2 shown]
	v_add_f64 v[26:27], v[26:27], -v[44:45]
	v_add_f64 v[32:33], v[58:59], -v[36:37]
	;; [unrolled: 1-line block ×4, first 2 shown]
	v_add_f64 v[36:37], v[36:37], v[44:45]
	v_add_f64 v[44:45], v[60:61], v[38:39]
	v_fma_f64 v[58:59], -0.5, v[44:45], v[2:3]
	v_fma_f64 v[44:45], s[12:13], v[26:27], v[58:59]
	v_fmac_f64_e32 v[58:59], s[14:15], v[26:27]
	v_fmac_f64_e32 v[44:45], s[16:17], v[32:33]
	;; [unrolled: 1-line block ×5, first 2 shown]
	v_add_f64 v[36:37], v[2:3], v[54:55]
	v_add_f64 v[52:53], v[54:55], v[46:47]
	;; [unrolled: 1-line block ×3, first 2 shown]
	v_fmac_f64_e32 v[2:3], -0.5, v[52:53]
	v_add_f64 v[36:37], v[36:37], v[38:39]
	v_add_f64 v[52:53], v[60:61], -v[54:55]
	v_add_f64 v[36:37], v[36:37], v[46:47]
	v_add_f64 v[38:39], v[38:39], -v[46:47]
	v_fma_f64 v[46:47], s[14:15], v[32:33], v[2:3]
	v_fmac_f64_e32 v[2:3], s[12:13], v[32:33]
	v_add_f64 v[38:39], v[52:53], v[38:39]
	v_fmac_f64_e32 v[46:47], s[16:17], v[26:27]
	v_fmac_f64_e32 v[2:3], s[10:11], v[26:27]
	;; [unrolled: 1-line block ×4, first 2 shown]
	v_add_f64 v[26:27], v[62:63], v[40:41]
	v_add_f64 v[32:33], v[56:57], -v[62:63]
	v_add_f64 v[38:39], v[48:49], -v[40:41]
	v_fma_f64 v[26:27], -0.5, v[26:27], v[4:5]
	v_add_f64 v[32:33], v[32:33], v[38:39]
	v_add_f64 v[38:39], v[14:15], -v[30:31]
	v_fma_f64 v[52:53], s[14:15], v[38:39], v[26:27]
	v_add_f64 v[54:55], v[34:35], -v[42:43]
	v_fmac_f64_e32 v[26:27], s[12:13], v[38:39]
	v_fmac_f64_e32 v[52:53], s[10:11], v[54:55]
	;; [unrolled: 1-line block ×5, first 2 shown]
	v_add_f64 v[32:33], v[4:5], v[56:57]
	v_add_f64 v[60:61], v[56:57], v[48:49]
	v_fmac_f64_e32 v[12:13], s[4:5], v[64:65]
	v_fmac_f64_e32 v[0:1], s[4:5], v[64:65]
	v_fmac_f64_e32 v[4:5], -0.5, v[60:61]
	v_add_f64 v[60:61], v[62:63], -v[56:57]
	v_add_f64 v[64:65], v[40:41], -v[48:49]
	v_add_f64 v[32:33], v[32:33], v[62:63]
	v_add_f64 v[60:61], v[60:61], v[64:65]
	v_fma_f64 v[64:65], s[12:13], v[54:55], v[4:5]
	v_fmac_f64_e32 v[4:5], s[14:15], v[54:55]
	v_add_f64 v[32:33], v[32:33], v[40:41]
	v_fmac_f64_e32 v[64:65], s[10:11], v[38:39]
	v_fmac_f64_e32 v[4:5], s[16:17], v[38:39]
	v_add_f64 v[38:39], v[32:33], v[48:49]
	v_add_f64 v[32:33], v[56:57], -v[48:49]
	v_add_f64 v[48:49], v[14:15], -v[34:35]
	;; [unrolled: 1-line block ×3, first 2 shown]
	v_add_f64 v[48:49], v[48:49], v[54:55]
	v_add_f64 v[54:55], v[34:35], v[42:43]
	v_fma_f64 v[54:55], -0.5, v[54:55], v[6:7]
	v_add_f64 v[40:41], v[62:63], -v[40:41]
	v_fma_f64 v[56:57], s[12:13], v[32:33], v[54:55]
	v_fmac_f64_e32 v[54:55], s[14:15], v[32:33]
	v_fmac_f64_e32 v[56:57], s[16:17], v[40:41]
	;; [unrolled: 1-line block ×5, first 2 shown]
	v_add_f64 v[48:49], v[6:7], v[14:15]
	v_fmac_f64_e32 v[64:65], s[4:5], v[60:61]
	v_fmac_f64_e32 v[4:5], s[4:5], v[60:61]
	v_add_f64 v[60:61], v[14:15], v[30:31]
	v_add_f64 v[48:49], v[48:49], v[34:35]
	v_fmac_f64_e32 v[6:7], -0.5, v[60:61]
	v_add_f64 v[14:15], v[34:35], -v[14:15]
	v_add_f64 v[34:35], v[48:49], v[42:43]
	v_add_f64 v[48:49], v[34:35], v[30:31]
	v_add_f64 v[30:31], v[42:43], -v[30:31]
	v_fma_f64 v[42:43], s[14:15], v[40:41], v[6:7]
	v_add_f64 v[14:15], v[14:15], v[30:31]
	v_fmac_f64_e32 v[42:43], s[16:17], v[32:33]
	v_fmac_f64_e32 v[6:7], s[12:13], v[40:41]
	;; [unrolled: 1-line block ×5, first 2 shown]
	v_add_f64 v[30:31], v[50:51], v[38:39]
	v_mul_f64 v[14:15], v[56:57], s[10:11]
	v_add_f64 v[32:33], v[36:37], v[48:49]
	v_add_f64 v[34:35], v[50:51], -v[38:39]
	v_add_f64 v[36:37], v[36:37], -v[48:49]
	v_mul_f64 v[48:49], v[56:57], s[18:19]
	v_mul_f64 v[50:51], v[42:43], s[14:15]
	;; [unrolled: 1-line block ×3, first 2 shown]
	v_fmac_f64_e32 v[14:15], s[18:19], v[52:53]
	v_fmac_f64_e32 v[48:49], s[16:17], v[52:53]
	;; [unrolled: 1-line block ×3, first 2 shown]
	v_mul_f64 v[52:53], v[42:43], s[4:5]
	v_mul_f64 v[56:57], v[6:7], s[14:15]
	;; [unrolled: 1-line block ×3, first 2 shown]
	v_fmac_f64_e32 v[62:63], s[22:23], v[26:27]
	v_add_f64 v[38:39], v[10:11], v[14:15]
	v_fmac_f64_e32 v[52:53], s[12:13], v[64:65]
	v_fmac_f64_e32 v[56:57], s[20:21], v[4:5]
	;; [unrolled: 1-line block ×3, first 2 shown]
	v_mul_f64 v[64:65], v[54:55], s[22:23]
	v_add_f64 v[4:5], v[10:11], -v[14:15]
	v_add_f64 v[42:43], v[12:13], v[50:51]
	v_add_f64 v[10:11], v[12:13], -v[50:51]
	v_add_f64 v[50:51], v[8:9], v[62:63]
	v_add_f64 v[54:55], v[8:9], -v[62:63]
	v_mul_u32_u24_e32 v8, 0x1f40, v17
	v_lshlrev_b32_sdwa v9, v16, v18 dst_sel:DWORD dst_unused:UNUSED_PAD src0_sel:DWORD src1_sel:BYTE_0
	v_fmac_f64_e32 v[64:65], s[16:17], v[26:27]
	v_add3_u32 v8, 0, v8, v9
	v_lshlrev_b32_e32 v26, 2, v24
	v_mov_b32_e32 v27, 0
	v_add_f64 v[40:41], v[44:45], v[48:49]
	v_add_f64 v[6:7], v[44:45], -v[48:49]
	v_add_f64 v[44:45], v[46:47], v[52:53]
	v_add_f64 v[12:13], v[46:47], -v[52:53]
	v_add_f64 v[46:47], v[0:1], v[56:57]
	v_add_f64 v[48:49], v[2:3], v[60:61]
	v_add_f64 v[0:1], v[0:1], -v[56:57]
	v_add_f64 v[2:3], v[2:3], -v[60:61]
	v_add_f64 v[52:53], v[58:59], v[64:65]
	v_add_f64 v[56:57], v[58:59], -v[64:65]
	s_barrier
	ds_write_b128 v8, v[30:33]
	ds_write_b128 v8, v[38:41] offset:800
	ds_write_b128 v8, v[42:45] offset:1600
	;; [unrolled: 1-line block ×9, first 2 shown]
	v_lshl_add_u64 v[4:5], v[26:27], 4, s[8:9]
	v_add_co_u32_e32 v0, vcc, s24, v4
	s_waitcnt lgkmcnt(0)
	s_nop 0
	v_addc_co_u32_e32 v1, vcc, 0, v5, vcc
	s_barrier
	global_load_dwordx4 v[0:3], v[0:1], off offset:3744
	s_mov_b64 s[18:19], 0x1ea0
	v_lshl_add_u64 v[12:13], v[4:5], 0, s[18:19]
	v_lshlrev_b32_e32 v26, 2, v25
	global_load_dwordx4 v[16:19], v[12:13], off offset:16
	global_load_dwordx4 v[8:11], v[12:13], off offset:32
	;; [unrolled: 1-line block ×3, first 2 shown]
	v_lshl_add_u64 v[12:13], v[26:27], 4, s[8:9]
	v_add_co_u32_e32 v14, vcc, s24, v12
	s_nop 1
	v_addc_co_u32_e32 v15, vcc, 0, v13, vcc
	global_load_dwordx4 v[30:33], v[14:15], off offset:3744
	v_lshl_add_u64 v[12:13], v[12:13], 0, s[18:19]
	global_load_dwordx4 v[34:37], v[12:13], off offset:16
	global_load_dwordx4 v[38:41], v[12:13], off offset:32
	;; [unrolled: 1-line block ×3, first 2 shown]
	ds_read_b128 v[46:49], v28 offset:8000
	ds_read_b128 v[50:53], v28 offset:16000
	;; [unrolled: 1-line block ×4, first 2 shown]
	s_waitcnt vmcnt(7) lgkmcnt(3)
	v_mul_f64 v[58:59], v[48:49], v[2:3]
	v_mul_f64 v[2:3], v[46:47], v[2:3]
	v_fmac_f64_e32 v[58:59], v[46:47], v[0:1]
	v_fma_f64 v[60:61], v[48:49], v[0:1], -v[2:3]
	ds_read_b128 v[0:3], v28 offset:24000
	ds_read_b128 v[46:49], v28 offset:32000
	s_waitcnt vmcnt(6) lgkmcnt(4)
	v_mul_f64 v[62:63], v[52:53], v[18:19]
	v_mul_f64 v[18:19], v[50:51], v[18:19]
	v_fmac_f64_e32 v[62:63], v[50:51], v[16:17]
	v_fma_f64 v[50:51], v[52:53], v[16:17], -v[18:19]
	ds_read_b128 v[16:19], v28 offset:20000
	s_waitcnt vmcnt(5) lgkmcnt(2)
	v_mul_f64 v[52:53], v[2:3], v[10:11]
	v_fmac_f64_e32 v[52:53], v[0:1], v[8:9]
	v_mul_f64 v[0:1], v[0:1], v[10:11]
	v_fma_f64 v[64:65], v[2:3], v[8:9], -v[0:1]
	ds_read_b128 v[0:3], v28 offset:28000
	s_waitcnt vmcnt(4) lgkmcnt(2)
	v_mul_f64 v[66:67], v[48:49], v[6:7]
	v_mul_f64 v[6:7], v[46:47], v[6:7]
	v_fmac_f64_e32 v[66:67], v[46:47], v[4:5]
	v_fma_f64 v[46:47], v[48:49], v[4:5], -v[6:7]
	s_waitcnt vmcnt(3)
	v_mul_f64 v[68:69], v[56:57], v[32:33]
	v_mul_f64 v[4:5], v[54:55], v[32:33]
	v_fmac_f64_e32 v[68:69], v[54:55], v[30:31]
	v_fma_f64 v[54:55], v[56:57], v[30:31], -v[4:5]
	s_waitcnt vmcnt(2) lgkmcnt(1)
	v_mul_f64 v[4:5], v[16:17], v[36:37]
	v_fma_f64 v[70:71], v[18:19], v[34:35], -v[4:5]
	ds_read_b128 v[4:7], v28
	ds_read_b128 v[8:11], v28 offset:36000
	s_waitcnt vmcnt(1) lgkmcnt(2)
	v_mul_f64 v[72:73], v[2:3], v[40:41]
	v_fmac_f64_e32 v[72:73], v[0:1], v[38:39]
	v_mul_f64 v[0:1], v[0:1], v[40:41]
	v_fma_f64 v[74:75], v[2:3], v[38:39], -v[0:1]
	s_waitcnt vmcnt(0) lgkmcnt(0)
	v_mul_f64 v[0:1], v[8:9], v[44:45]
	v_mul_f64 v[40:41], v[10:11], v[44:45]
	v_fma_f64 v[44:45], v[10:11], v[42:43], -v[0:1]
	v_add_f64 v[0:1], v[62:63], v[52:53]
	v_fmac_f64_e32 v[40:41], v[8:9], v[42:43]
	v_fma_f64 v[0:1], -0.5, v[0:1], v[4:5]
	v_add_f64 v[2:3], v[60:61], -v[46:47]
	v_add_f64 v[8:9], v[58:59], -v[62:63]
	;; [unrolled: 1-line block ×3, first 2 shown]
	v_mul_f64 v[56:57], v[18:19], v[36:37]
	v_add_f64 v[10:11], v[8:9], v[10:11]
	v_fma_f64 v[8:9], s[14:15], v[2:3], v[0:1]
	v_add_f64 v[18:19], v[50:51], -v[64:65]
	v_fmac_f64_e32 v[0:1], s[12:13], v[2:3]
	v_fmac_f64_e32 v[56:57], v[16:17], v[34:35]
	;; [unrolled: 1-line block ×4, first 2 shown]
	v_add_f64 v[16:17], v[58:59], v[66:67]
	v_fmac_f64_e32 v[8:9], s[4:5], v[10:11]
	v_fmac_f64_e32 v[0:1], s[4:5], v[10:11]
	v_add_f64 v[10:11], v[4:5], v[58:59]
	v_fmac_f64_e32 v[4:5], -0.5, v[16:17]
	v_add_f64 v[16:17], v[62:63], -v[58:59]
	v_add_f64 v[30:31], v[52:53], -v[66:67]
	v_add_f64 v[30:31], v[16:17], v[30:31]
	v_fma_f64 v[16:17], s[12:13], v[18:19], v[4:5]
	v_fmac_f64_e32 v[4:5], s[14:15], v[18:19]
	v_fmac_f64_e32 v[16:17], s[10:11], v[2:3]
	;; [unrolled: 1-line block ×3, first 2 shown]
	v_add_f64 v[2:3], v[10:11], v[62:63]
	v_add_f64 v[10:11], v[6:7], v[60:61]
	;; [unrolled: 1-line block ×4, first 2 shown]
	v_fmac_f64_e32 v[16:17], s[4:5], v[30:31]
	v_fmac_f64_e32 v[4:5], s[4:5], v[30:31]
	v_add_f64 v[10:11], v[10:11], v[64:65]
	v_add_f64 v[30:31], v[2:3], v[66:67]
	;; [unrolled: 1-line block ×4, first 2 shown]
	v_fma_f64 v[2:3], -0.5, v[2:3], v[6:7]
	v_add_f64 v[34:35], v[58:59], -v[66:67]
	v_add_f64 v[10:11], v[60:61], -v[50:51]
	;; [unrolled: 1-line block ×4, first 2 shown]
	v_add_f64 v[18:19], v[10:11], v[18:19]
	v_fma_f64 v[10:11], s[12:13], v[34:35], v[2:3]
	v_fmac_f64_e32 v[2:3], s[14:15], v[34:35]
	v_fmac_f64_e32 v[10:11], s[16:17], v[36:37]
	;; [unrolled: 1-line block ×5, first 2 shown]
	v_add_f64 v[18:19], v[60:61], v[46:47]
	v_fmac_f64_e32 v[6:7], -0.5, v[18:19]
	v_add_f64 v[38:39], v[50:51], -v[60:61]
	v_add_f64 v[42:43], v[64:65], -v[46:47]
	v_fma_f64 v[18:19], s[14:15], v[36:37], v[6:7]
	v_fmac_f64_e32 v[6:7], s[12:13], v[36:37]
	v_fmac_f64_e32 v[18:19], s[16:17], v[34:35]
	v_add_f64 v[38:39], v[38:39], v[42:43]
	v_fmac_f64_e32 v[6:7], s[10:11], v[34:35]
	v_add_f64 v[34:35], v[56:57], v[72:73]
	v_fmac_f64_e32 v[18:19], s[4:5], v[38:39]
	v_fmac_f64_e32 v[6:7], s[4:5], v[38:39]
	v_fma_f64 v[34:35], -0.5, v[34:35], v[12:13]
	v_add_f64 v[36:37], v[68:69], -v[56:57]
	v_add_f64 v[38:39], v[40:41], -v[72:73]
	;; [unrolled: 1-line block ×3, first 2 shown]
	v_add_f64 v[36:37], v[36:37], v[38:39]
	v_add_f64 v[48:49], v[70:71], -v[74:75]
	v_fma_f64 v[38:39], s[14:15], v[46:47], v[34:35]
	v_fmac_f64_e32 v[34:35], s[12:13], v[46:47]
	v_fmac_f64_e32 v[38:39], s[10:11], v[48:49]
	;; [unrolled: 1-line block ×3, first 2 shown]
	v_add_f64 v[42:43], v[68:69], v[40:41]
	v_fmac_f64_e32 v[38:39], s[4:5], v[36:37]
	v_fmac_f64_e32 v[34:35], s[4:5], v[36:37]
	v_add_f64 v[36:37], v[12:13], v[68:69]
	v_fmac_f64_e32 v[12:13], -0.5, v[42:43]
	v_add_f64 v[42:43], v[56:57], -v[68:69]
	v_add_f64 v[50:51], v[72:73], -v[40:41]
	v_add_f64 v[50:51], v[42:43], v[50:51]
	v_fma_f64 v[42:43], s[12:13], v[48:49], v[12:13]
	v_fmac_f64_e32 v[12:13], s[14:15], v[48:49]
	v_fmac_f64_e32 v[42:43], s[10:11], v[46:47]
	;; [unrolled: 1-line block ×3, first 2 shown]
	v_add_f64 v[36:37], v[36:37], v[56:57]
	v_add_f64 v[46:47], v[14:15], v[54:55]
	;; [unrolled: 1-line block ×7, first 2 shown]
	v_fmac_f64_e32 v[42:43], s[4:5], v[50:51]
	v_fmac_f64_e32 v[12:13], s[4:5], v[50:51]
	v_fma_f64 v[36:37], -0.5, v[36:37], v[14:15]
	v_add_f64 v[50:51], v[68:69], -v[40:41]
	v_add_f64 v[52:53], v[56:57], -v[72:73]
	;; [unrolled: 1-line block ×4, first 2 shown]
	v_add_f64 v[56:57], v[40:41], v[56:57]
	v_fma_f64 v[40:41], s[12:13], v[50:51], v[36:37]
	v_fmac_f64_e32 v[36:37], s[14:15], v[50:51]
	v_fmac_f64_e32 v[40:41], s[16:17], v[52:53]
	;; [unrolled: 1-line block ×5, first 2 shown]
	v_add_f64 v[56:57], v[54:55], v[44:45]
	v_fmac_f64_e32 v[14:15], -0.5, v[56:57]
	v_add_f64 v[48:49], v[48:49], v[44:45]
	v_add_f64 v[54:55], v[70:71], -v[54:55]
	v_add_f64 v[56:57], v[74:75], -v[44:45]
	v_fma_f64 v[44:45], s[14:15], v[52:53], v[14:15]
	v_fmac_f64_e32 v[14:15], s[12:13], v[52:53]
	v_fmac_f64_e32 v[44:45], s[16:17], v[50:51]
	v_add_f64 v[54:55], v[54:55], v[56:57]
	v_fmac_f64_e32 v[14:15], s[10:11], v[50:51]
	v_fmac_f64_e32 v[44:45], s[4:5], v[54:55]
	;; [unrolled: 1-line block ×3, first 2 shown]
	s_barrier
	ds_write_b128 v28, v[30:33]
	ds_write_b128 v28, v[8:11] offset:8000
	ds_write_b128 v28, v[16:19] offset:16000
	;; [unrolled: 1-line block ×9, first 2 shown]
	s_waitcnt lgkmcnt(0)
	s_barrier
	s_and_saveexec_b64 s[4:5], s[0:1]
	s_cbranch_execz .LBB0_21
; %bb.20:
	v_mul_lo_u32 v2, s3, v22
	v_mul_lo_u32 v3, s2, v23
	v_mad_u64_u32 v[0:1], s[0:1], s2, v22, 0
	v_add3_u32 v1, v1, v3, v2
	v_lshl_add_u32 v16, v24, 4, 0
	v_lshl_add_u64 v[4:5], v[0:1], 4, s[6:7]
	ds_read_b128 v[0:3], v16
	v_mov_b32_e32 v25, v27
	v_lshl_add_u64 v[12:13], v[20:21], 4, v[4:5]
	v_lshl_add_u64 v[14:15], v[24:25], 4, v[12:13]
	ds_read_b128 v[4:7], v16 offset:36000
	ds_read_b128 v[8:11], v16 offset:4000
	s_waitcnt lgkmcnt(2)
	global_store_dwordx4 v[14:15], v[0:3], off
	ds_read_b128 v[0:3], v16 offset:8000
	v_add_u32_e32 v26, 0xfa, v24
	v_lshl_add_u64 v[14:15], v[26:27], 4, v[12:13]
	v_add_u32_e32 v26, 0x1f4, v24
	s_waitcnt lgkmcnt(1)
	global_store_dwordx4 v[14:15], v[8:11], off
	ds_read_b128 v[8:11], v16 offset:12000
	v_lshl_add_u64 v[14:15], v[26:27], 4, v[12:13]
	s_waitcnt lgkmcnt(1)
	global_store_dwordx4 v[14:15], v[0:3], off
	ds_read_b128 v[0:3], v16 offset:16000
	v_add_u32_e32 v26, 0x2ee, v24
	v_lshl_add_u64 v[14:15], v[26:27], 4, v[12:13]
	v_add_u32_e32 v26, 0x3e8, v24
	s_waitcnt lgkmcnt(1)
	global_store_dwordx4 v[14:15], v[8:11], off
	ds_read_b128 v[8:11], v16 offset:20000
	v_lshl_add_u64 v[14:15], v[26:27], 4, v[12:13]
	s_waitcnt lgkmcnt(1)
	global_store_dwordx4 v[14:15], v[0:3], off
	ds_read_b128 v[0:3], v16 offset:24000
	v_add_u32_e32 v26, 0x4e2, v24
	v_lshl_add_u64 v[14:15], v[26:27], 4, v[12:13]
	v_add_u32_e32 v26, 0x5dc, v24
	s_waitcnt lgkmcnt(1)
	global_store_dwordx4 v[14:15], v[8:11], off
	ds_read_b128 v[8:11], v16 offset:28000
	v_lshl_add_u64 v[14:15], v[26:27], 4, v[12:13]
	s_waitcnt lgkmcnt(1)
	global_store_dwordx4 v[14:15], v[0:3], off
	ds_read_b128 v[0:3], v16 offset:32000
	v_add_u32_e32 v26, 0x6d6, v24
	v_lshl_add_u64 v[14:15], v[26:27], 4, v[12:13]
	v_add_u32_e32 v26, 0x7d0, v24
	s_waitcnt lgkmcnt(1)
	global_store_dwordx4 v[14:15], v[8:11], off
	s_nop 1
	v_lshl_add_u64 v[8:9], v[26:27], 4, v[12:13]
	v_add_u32_e32 v26, 0x8ca, v24
	s_waitcnt lgkmcnt(0)
	global_store_dwordx4 v[8:9], v[0:3], off
	s_nop 1
	v_lshl_add_u64 v[0:1], v[26:27], 4, v[12:13]
	global_store_dwordx4 v[0:1], v[4:7], off
.LBB0_21:
	s_endpgm
	.section	.rodata,"a",@progbits
	.p2align	6, 0x0
	.amdhsa_kernel fft_rtc_back_len2500_factors_10_5_10_5_wgs_250_tpt_250_halfLds_dp_op_CI_CI_unitstride_sbrr_C2R_dirReg
		.amdhsa_group_segment_fixed_size 0
		.amdhsa_private_segment_fixed_size 0
		.amdhsa_kernarg_size 104
		.amdhsa_user_sgpr_count 2
		.amdhsa_user_sgpr_dispatch_ptr 0
		.amdhsa_user_sgpr_queue_ptr 0
		.amdhsa_user_sgpr_kernarg_segment_ptr 1
		.amdhsa_user_sgpr_dispatch_id 0
		.amdhsa_user_sgpr_kernarg_preload_length 0
		.amdhsa_user_sgpr_kernarg_preload_offset 0
		.amdhsa_user_sgpr_private_segment_size 0
		.amdhsa_uses_dynamic_stack 0
		.amdhsa_enable_private_segment 0
		.amdhsa_system_sgpr_workgroup_id_x 1
		.amdhsa_system_sgpr_workgroup_id_y 0
		.amdhsa_system_sgpr_workgroup_id_z 0
		.amdhsa_system_sgpr_workgroup_info 0
		.amdhsa_system_vgpr_workitem_id 0
		.amdhsa_next_free_vgpr 92
		.amdhsa_next_free_sgpr 28
		.amdhsa_accum_offset 92
		.amdhsa_reserve_vcc 1
		.amdhsa_float_round_mode_32 0
		.amdhsa_float_round_mode_16_64 0
		.amdhsa_float_denorm_mode_32 3
		.amdhsa_float_denorm_mode_16_64 3
		.amdhsa_dx10_clamp 1
		.amdhsa_ieee_mode 1
		.amdhsa_fp16_overflow 0
		.amdhsa_tg_split 0
		.amdhsa_exception_fp_ieee_invalid_op 0
		.amdhsa_exception_fp_denorm_src 0
		.amdhsa_exception_fp_ieee_div_zero 0
		.amdhsa_exception_fp_ieee_overflow 0
		.amdhsa_exception_fp_ieee_underflow 0
		.amdhsa_exception_fp_ieee_inexact 0
		.amdhsa_exception_int_div_zero 0
	.end_amdhsa_kernel
	.text
.Lfunc_end0:
	.size	fft_rtc_back_len2500_factors_10_5_10_5_wgs_250_tpt_250_halfLds_dp_op_CI_CI_unitstride_sbrr_C2R_dirReg, .Lfunc_end0-fft_rtc_back_len2500_factors_10_5_10_5_wgs_250_tpt_250_halfLds_dp_op_CI_CI_unitstride_sbrr_C2R_dirReg
                                        ; -- End function
	.section	.AMDGPU.csdata,"",@progbits
; Kernel info:
; codeLenInByte = 8556
; NumSgprs: 34
; NumVgprs: 92
; NumAgprs: 0
; TotalNumVgprs: 92
; ScratchSize: 0
; MemoryBound: 0
; FloatMode: 240
; IeeeMode: 1
; LDSByteSize: 0 bytes/workgroup (compile time only)
; SGPRBlocks: 4
; VGPRBlocks: 11
; NumSGPRsForWavesPerEU: 34
; NumVGPRsForWavesPerEU: 92
; AccumOffset: 92
; Occupancy: 5
; WaveLimiterHint : 1
; COMPUTE_PGM_RSRC2:SCRATCH_EN: 0
; COMPUTE_PGM_RSRC2:USER_SGPR: 2
; COMPUTE_PGM_RSRC2:TRAP_HANDLER: 0
; COMPUTE_PGM_RSRC2:TGID_X_EN: 1
; COMPUTE_PGM_RSRC2:TGID_Y_EN: 0
; COMPUTE_PGM_RSRC2:TGID_Z_EN: 0
; COMPUTE_PGM_RSRC2:TIDIG_COMP_CNT: 0
; COMPUTE_PGM_RSRC3_GFX90A:ACCUM_OFFSET: 22
; COMPUTE_PGM_RSRC3_GFX90A:TG_SPLIT: 0
	.text
	.p2alignl 6, 3212836864
	.fill 256, 4, 3212836864
	.type	__hip_cuid_a77e438084c60a19,@object ; @__hip_cuid_a77e438084c60a19
	.section	.bss,"aw",@nobits
	.globl	__hip_cuid_a77e438084c60a19
__hip_cuid_a77e438084c60a19:
	.byte	0                               ; 0x0
	.size	__hip_cuid_a77e438084c60a19, 1

	.ident	"AMD clang version 19.0.0git (https://github.com/RadeonOpenCompute/llvm-project roc-6.4.0 25133 c7fe45cf4b819c5991fe208aaa96edf142730f1d)"
	.section	".note.GNU-stack","",@progbits
	.addrsig
	.addrsig_sym __hip_cuid_a77e438084c60a19
	.amdgpu_metadata
---
amdhsa.kernels:
  - .agpr_count:     0
    .args:
      - .actual_access:  read_only
        .address_space:  global
        .offset:         0
        .size:           8
        .value_kind:     global_buffer
      - .offset:         8
        .size:           8
        .value_kind:     by_value
      - .actual_access:  read_only
        .address_space:  global
        .offset:         16
        .size:           8
        .value_kind:     global_buffer
      - .actual_access:  read_only
        .address_space:  global
        .offset:         24
        .size:           8
        .value_kind:     global_buffer
      - .actual_access:  read_only
        .address_space:  global
        .offset:         32
        .size:           8
        .value_kind:     global_buffer
      - .offset:         40
        .size:           8
        .value_kind:     by_value
      - .actual_access:  read_only
        .address_space:  global
        .offset:         48
        .size:           8
        .value_kind:     global_buffer
      - .actual_access:  read_only
        .address_space:  global
        .offset:         56
        .size:           8
        .value_kind:     global_buffer
      - .offset:         64
        .size:           4
        .value_kind:     by_value
      - .actual_access:  read_only
        .address_space:  global
        .offset:         72
        .size:           8
        .value_kind:     global_buffer
      - .actual_access:  read_only
        .address_space:  global
        .offset:         80
        .size:           8
        .value_kind:     global_buffer
      - .actual_access:  read_only
        .address_space:  global
        .offset:         88
        .size:           8
        .value_kind:     global_buffer
      - .actual_access:  write_only
        .address_space:  global
        .offset:         96
        .size:           8
        .value_kind:     global_buffer
    .group_segment_fixed_size: 0
    .kernarg_segment_align: 8
    .kernarg_segment_size: 104
    .language:       OpenCL C
    .language_version:
      - 2
      - 0
    .max_flat_workgroup_size: 250
    .name:           fft_rtc_back_len2500_factors_10_5_10_5_wgs_250_tpt_250_halfLds_dp_op_CI_CI_unitstride_sbrr_C2R_dirReg
    .private_segment_fixed_size: 0
    .sgpr_count:     34
    .sgpr_spill_count: 0
    .symbol:         fft_rtc_back_len2500_factors_10_5_10_5_wgs_250_tpt_250_halfLds_dp_op_CI_CI_unitstride_sbrr_C2R_dirReg.kd
    .uniform_work_group_size: 1
    .uses_dynamic_stack: false
    .vgpr_count:     92
    .vgpr_spill_count: 0
    .wavefront_size: 64
amdhsa.target:   amdgcn-amd-amdhsa--gfx950
amdhsa.version:
  - 1
  - 2
...

	.end_amdgpu_metadata
